;; amdgpu-corpus repo=ROCm/rocFFT kind=compiled arch=gfx1100 opt=O3
	.text
	.amdgcn_target "amdgcn-amd-amdhsa--gfx1100"
	.amdhsa_code_object_version 6
	.protected	fft_rtc_back_len22_factors_11_2_wgs_64_tpt_2_halfLds_sp_op_CI_CI_unitstride_sbrr_dirReg ; -- Begin function fft_rtc_back_len22_factors_11_2_wgs_64_tpt_2_halfLds_sp_op_CI_CI_unitstride_sbrr_dirReg
	.globl	fft_rtc_back_len22_factors_11_2_wgs_64_tpt_2_halfLds_sp_op_CI_CI_unitstride_sbrr_dirReg
	.p2align	8
	.type	fft_rtc_back_len22_factors_11_2_wgs_64_tpt_2_halfLds_sp_op_CI_CI_unitstride_sbrr_dirReg,@function
fft_rtc_back_len22_factors_11_2_wgs_64_tpt_2_halfLds_sp_op_CI_CI_unitstride_sbrr_dirReg: ; @fft_rtc_back_len22_factors_11_2_wgs_64_tpt_2_halfLds_sp_op_CI_CI_unitstride_sbrr_dirReg
; %bb.0:
	s_clause 0x2
	s_load_b128 s[4:7], s[0:1], 0x0
	s_load_b128 s[8:11], s[0:1], 0x58
	;; [unrolled: 1-line block ×3, first 2 shown]
	v_lshrrev_b32_e32 v10, 1, v0
	v_dual_mov_b32 v3, 0 :: v_dual_mov_b32 v14, 0
	v_mov_b32_e32 v15, 0
	s_delay_alu instid0(VALU_DEP_3) | instskip(NEXT) | instid1(VALU_DEP_3)
	v_lshl_or_b32 v7, s15, 5, v10
	v_mov_b32_e32 v8, v3
	s_waitcnt lgkmcnt(0)
	v_cmp_lt_u64_e64 s2, s[6:7], 2
	s_delay_alu instid0(VALU_DEP_1)
	s_and_b32 vcc_lo, exec_lo, s2
	s_cbranch_vccnz .LBB0_8
; %bb.1:
	s_load_b64 s[2:3], s[0:1], 0x10
	v_mov_b32_e32 v14, 0
	v_mov_b32_e32 v15, 0
	s_add_u32 s12, s18, 8
	s_addc_u32 s13, s19, 0
	s_add_u32 s14, s16, 8
	s_delay_alu instid0(VALU_DEP_1)
	v_dual_mov_b32 v1, v14 :: v_dual_mov_b32 v2, v15
	s_addc_u32 s15, s17, 0
	s_mov_b64 s[22:23], 1
	s_waitcnt lgkmcnt(0)
	s_add_u32 s20, s2, 8
	s_addc_u32 s21, s3, 0
.LBB0_2:                                ; =>This Inner Loop Header: Depth=1
	s_load_b64 s[24:25], s[20:21], 0x0
                                        ; implicit-def: $vgpr5_vgpr6
	s_mov_b32 s2, exec_lo
	s_waitcnt lgkmcnt(0)
	v_or_b32_e32 v4, s25, v8
	s_delay_alu instid0(VALU_DEP_1)
	v_cmpx_ne_u64_e32 0, v[3:4]
	s_xor_b32 s3, exec_lo, s2
	s_cbranch_execz .LBB0_4
; %bb.3:                                ;   in Loop: Header=BB0_2 Depth=1
	v_cvt_f32_u32_e32 v4, s24
	v_cvt_f32_u32_e32 v5, s25
	s_sub_u32 s2, 0, s24
	s_subb_u32 s26, 0, s25
	s_delay_alu instid0(VALU_DEP_1) | instskip(NEXT) | instid1(VALU_DEP_1)
	v_fmac_f32_e32 v4, 0x4f800000, v5
	v_rcp_f32_e32 v4, v4
	s_waitcnt_depctr 0xfff
	v_mul_f32_e32 v4, 0x5f7ffffc, v4
	s_delay_alu instid0(VALU_DEP_1) | instskip(NEXT) | instid1(VALU_DEP_1)
	v_mul_f32_e32 v5, 0x2f800000, v4
	v_trunc_f32_e32 v5, v5
	s_delay_alu instid0(VALU_DEP_1) | instskip(SKIP_1) | instid1(VALU_DEP_2)
	v_fmac_f32_e32 v4, 0xcf800000, v5
	v_cvt_u32_f32_e32 v5, v5
	v_cvt_u32_f32_e32 v4, v4
	s_delay_alu instid0(VALU_DEP_2) | instskip(NEXT) | instid1(VALU_DEP_2)
	v_mul_lo_u32 v6, s2, v5
	v_mul_hi_u32 v9, s2, v4
	v_mul_lo_u32 v11, s26, v4
	s_delay_alu instid0(VALU_DEP_2) | instskip(SKIP_1) | instid1(VALU_DEP_2)
	v_add_nc_u32_e32 v6, v9, v6
	v_mul_lo_u32 v9, s2, v4
	v_add_nc_u32_e32 v6, v6, v11
	s_delay_alu instid0(VALU_DEP_2) | instskip(NEXT) | instid1(VALU_DEP_2)
	v_mul_hi_u32 v11, v4, v9
	v_mul_lo_u32 v12, v4, v6
	v_mul_hi_u32 v13, v4, v6
	v_mul_hi_u32 v16, v5, v9
	v_mul_lo_u32 v9, v5, v9
	v_mul_hi_u32 v17, v5, v6
	v_mul_lo_u32 v6, v5, v6
	v_add_co_u32 v11, vcc_lo, v11, v12
	v_add_co_ci_u32_e32 v12, vcc_lo, 0, v13, vcc_lo
	s_delay_alu instid0(VALU_DEP_2) | instskip(NEXT) | instid1(VALU_DEP_2)
	v_add_co_u32 v9, vcc_lo, v11, v9
	v_add_co_ci_u32_e32 v9, vcc_lo, v12, v16, vcc_lo
	v_add_co_ci_u32_e32 v11, vcc_lo, 0, v17, vcc_lo
	s_delay_alu instid0(VALU_DEP_2) | instskip(NEXT) | instid1(VALU_DEP_2)
	v_add_co_u32 v6, vcc_lo, v9, v6
	v_add_co_ci_u32_e32 v9, vcc_lo, 0, v11, vcc_lo
	s_delay_alu instid0(VALU_DEP_2) | instskip(NEXT) | instid1(VALU_DEP_2)
	v_add_co_u32 v4, vcc_lo, v4, v6
	v_add_co_ci_u32_e32 v5, vcc_lo, v5, v9, vcc_lo
	s_delay_alu instid0(VALU_DEP_2) | instskip(SKIP_1) | instid1(VALU_DEP_3)
	v_mul_hi_u32 v6, s2, v4
	v_mul_lo_u32 v11, s26, v4
	v_mul_lo_u32 v9, s2, v5
	s_delay_alu instid0(VALU_DEP_1) | instskip(SKIP_1) | instid1(VALU_DEP_2)
	v_add_nc_u32_e32 v6, v6, v9
	v_mul_lo_u32 v9, s2, v4
	v_add_nc_u32_e32 v6, v6, v11
	s_delay_alu instid0(VALU_DEP_2) | instskip(NEXT) | instid1(VALU_DEP_2)
	v_mul_hi_u32 v11, v4, v9
	v_mul_lo_u32 v12, v4, v6
	v_mul_hi_u32 v13, v4, v6
	v_mul_hi_u32 v16, v5, v9
	v_mul_lo_u32 v9, v5, v9
	v_mul_hi_u32 v17, v5, v6
	v_mul_lo_u32 v6, v5, v6
	v_add_co_u32 v11, vcc_lo, v11, v12
	v_add_co_ci_u32_e32 v12, vcc_lo, 0, v13, vcc_lo
	s_delay_alu instid0(VALU_DEP_2) | instskip(NEXT) | instid1(VALU_DEP_2)
	v_add_co_u32 v9, vcc_lo, v11, v9
	v_add_co_ci_u32_e32 v9, vcc_lo, v12, v16, vcc_lo
	v_add_co_ci_u32_e32 v11, vcc_lo, 0, v17, vcc_lo
	s_delay_alu instid0(VALU_DEP_2) | instskip(NEXT) | instid1(VALU_DEP_2)
	v_add_co_u32 v6, vcc_lo, v9, v6
	v_add_co_ci_u32_e32 v9, vcc_lo, 0, v11, vcc_lo
	s_delay_alu instid0(VALU_DEP_2) | instskip(NEXT) | instid1(VALU_DEP_2)
	v_add_co_u32 v6, vcc_lo, v4, v6
	v_add_co_ci_u32_e32 v9, vcc_lo, v5, v9, vcc_lo
	s_delay_alu instid0(VALU_DEP_2) | instskip(SKIP_1) | instid1(VALU_DEP_3)
	v_mul_hi_u32 v13, v7, v6
	v_mad_u64_u32 v[11:12], null, v8, v6, 0
	v_mad_u64_u32 v[4:5], null, v7, v9, 0
	;; [unrolled: 1-line block ×3, first 2 shown]
	s_delay_alu instid0(VALU_DEP_2) | instskip(NEXT) | instid1(VALU_DEP_3)
	v_add_co_u32 v4, vcc_lo, v13, v4
	v_add_co_ci_u32_e32 v5, vcc_lo, 0, v5, vcc_lo
	s_delay_alu instid0(VALU_DEP_2) | instskip(NEXT) | instid1(VALU_DEP_2)
	v_add_co_u32 v4, vcc_lo, v4, v11
	v_add_co_ci_u32_e32 v4, vcc_lo, v5, v12, vcc_lo
	v_add_co_ci_u32_e32 v5, vcc_lo, 0, v17, vcc_lo
	s_delay_alu instid0(VALU_DEP_2) | instskip(NEXT) | instid1(VALU_DEP_2)
	v_add_co_u32 v9, vcc_lo, v4, v16
	v_add_co_ci_u32_e32 v6, vcc_lo, 0, v5, vcc_lo
	s_delay_alu instid0(VALU_DEP_2) | instskip(SKIP_1) | instid1(VALU_DEP_3)
	v_mul_lo_u32 v11, s25, v9
	v_mad_u64_u32 v[4:5], null, s24, v9, 0
	v_mul_lo_u32 v12, s24, v6
	s_delay_alu instid0(VALU_DEP_2) | instskip(NEXT) | instid1(VALU_DEP_2)
	v_sub_co_u32 v4, vcc_lo, v7, v4
	v_add3_u32 v5, v5, v12, v11
	s_delay_alu instid0(VALU_DEP_1) | instskip(NEXT) | instid1(VALU_DEP_1)
	v_sub_nc_u32_e32 v11, v8, v5
	v_subrev_co_ci_u32_e64 v11, s2, s25, v11, vcc_lo
	v_add_co_u32 v12, s2, v9, 2
	s_delay_alu instid0(VALU_DEP_1) | instskip(SKIP_3) | instid1(VALU_DEP_3)
	v_add_co_ci_u32_e64 v13, s2, 0, v6, s2
	v_sub_co_u32 v16, s2, v4, s24
	v_sub_co_ci_u32_e32 v5, vcc_lo, v8, v5, vcc_lo
	v_subrev_co_ci_u32_e64 v11, s2, 0, v11, s2
	v_cmp_le_u32_e32 vcc_lo, s24, v16
	s_delay_alu instid0(VALU_DEP_3) | instskip(SKIP_1) | instid1(VALU_DEP_4)
	v_cmp_eq_u32_e64 s2, s25, v5
	v_cndmask_b32_e64 v16, 0, -1, vcc_lo
	v_cmp_le_u32_e32 vcc_lo, s25, v11
	v_cndmask_b32_e64 v17, 0, -1, vcc_lo
	v_cmp_le_u32_e32 vcc_lo, s24, v4
	;; [unrolled: 2-line block ×3, first 2 shown]
	v_cndmask_b32_e64 v18, 0, -1, vcc_lo
	v_cmp_eq_u32_e32 vcc_lo, s25, v11
	s_delay_alu instid0(VALU_DEP_2) | instskip(SKIP_3) | instid1(VALU_DEP_3)
	v_cndmask_b32_e64 v4, v18, v4, s2
	v_cndmask_b32_e32 v11, v17, v16, vcc_lo
	v_add_co_u32 v16, vcc_lo, v9, 1
	v_add_co_ci_u32_e32 v17, vcc_lo, 0, v6, vcc_lo
	v_cmp_ne_u32_e32 vcc_lo, 0, v11
	s_delay_alu instid0(VALU_DEP_2) | instskip(NEXT) | instid1(VALU_DEP_4)
	v_cndmask_b32_e32 v5, v17, v13, vcc_lo
	v_cndmask_b32_e32 v11, v16, v12, vcc_lo
	v_cmp_ne_u32_e32 vcc_lo, 0, v4
	s_delay_alu instid0(VALU_DEP_2)
	v_dual_cndmask_b32 v6, v6, v5 :: v_dual_cndmask_b32 v5, v9, v11
.LBB0_4:                                ;   in Loop: Header=BB0_2 Depth=1
	s_and_not1_saveexec_b32 s2, s3
	s_cbranch_execz .LBB0_6
; %bb.5:                                ;   in Loop: Header=BB0_2 Depth=1
	v_cvt_f32_u32_e32 v4, s24
	s_sub_i32 s3, 0, s24
	s_delay_alu instid0(VALU_DEP_1) | instskip(SKIP_2) | instid1(VALU_DEP_1)
	v_rcp_iflag_f32_e32 v4, v4
	s_waitcnt_depctr 0xfff
	v_mul_f32_e32 v4, 0x4f7ffffe, v4
	v_cvt_u32_f32_e32 v4, v4
	s_delay_alu instid0(VALU_DEP_1) | instskip(NEXT) | instid1(VALU_DEP_1)
	v_mul_lo_u32 v5, s3, v4
	v_mul_hi_u32 v5, v4, v5
	s_delay_alu instid0(VALU_DEP_1) | instskip(NEXT) | instid1(VALU_DEP_1)
	v_add_nc_u32_e32 v4, v4, v5
	v_mul_hi_u32 v4, v7, v4
	s_delay_alu instid0(VALU_DEP_1) | instskip(SKIP_1) | instid1(VALU_DEP_2)
	v_mul_lo_u32 v5, v4, s24
	v_add_nc_u32_e32 v6, 1, v4
	v_sub_nc_u32_e32 v5, v7, v5
	s_delay_alu instid0(VALU_DEP_1) | instskip(SKIP_1) | instid1(VALU_DEP_2)
	v_subrev_nc_u32_e32 v9, s24, v5
	v_cmp_le_u32_e32 vcc_lo, s24, v5
	v_dual_cndmask_b32 v5, v5, v9 :: v_dual_cndmask_b32 v4, v4, v6
	s_delay_alu instid0(VALU_DEP_1) | instskip(NEXT) | instid1(VALU_DEP_2)
	v_cmp_le_u32_e32 vcc_lo, s24, v5
	v_add_nc_u32_e32 v6, 1, v4
	s_delay_alu instid0(VALU_DEP_1)
	v_dual_cndmask_b32 v5, v4, v6 :: v_dual_mov_b32 v6, v3
.LBB0_6:                                ;   in Loop: Header=BB0_2 Depth=1
	s_or_b32 exec_lo, exec_lo, s2
	s_delay_alu instid0(VALU_DEP_1) | instskip(NEXT) | instid1(VALU_DEP_2)
	v_mul_lo_u32 v4, v6, s24
	v_mul_lo_u32 v9, v5, s25
	s_load_b64 s[2:3], s[14:15], 0x0
	v_mad_u64_u32 v[11:12], null, v5, s24, 0
	s_load_b64 s[24:25], s[12:13], 0x0
	s_add_u32 s22, s22, 1
	s_addc_u32 s23, s23, 0
	s_add_u32 s12, s12, 8
	s_addc_u32 s13, s13, 0
	s_add_u32 s14, s14, 8
	s_delay_alu instid0(VALU_DEP_1) | instskip(SKIP_3) | instid1(VALU_DEP_2)
	v_add3_u32 v4, v12, v9, v4
	v_sub_co_u32 v9, vcc_lo, v7, v11
	s_addc_u32 s15, s15, 0
	s_add_u32 s20, s20, 8
	v_sub_co_ci_u32_e32 v4, vcc_lo, v8, v4, vcc_lo
	s_addc_u32 s21, s21, 0
	s_waitcnt lgkmcnt(0)
	s_delay_alu instid0(VALU_DEP_1)
	v_mul_lo_u32 v13, s2, v4
	v_mul_lo_u32 v16, s3, v9
	v_mad_u64_u32 v[7:8], null, s2, v9, v[14:15]
	v_mul_lo_u32 v4, s24, v4
	v_mul_lo_u32 v17, s25, v9
	v_mad_u64_u32 v[11:12], null, s24, v9, v[1:2]
	v_cmp_ge_u64_e64 s2, s[22:23], s[6:7]
	v_add3_u32 v15, v16, v8, v13
	v_mov_b32_e32 v14, v7
	s_delay_alu instid0(VALU_DEP_4)
	v_add3_u32 v2, v17, v12, v4
	v_mov_b32_e32 v1, v11
	s_and_b32 vcc_lo, exec_lo, s2
	s_cbranch_vccnz .LBB0_9
; %bb.7:                                ;   in Loop: Header=BB0_2 Depth=1
	v_dual_mov_b32 v8, v6 :: v_dual_mov_b32 v7, v5
	s_branch .LBB0_2
.LBB0_8:
	v_dual_mov_b32 v1, v14 :: v_dual_mov_b32 v2, v15
	v_dual_mov_b32 v5, v7 :: v_dual_mov_b32 v6, v8
.LBB0_9:
	s_load_b64 s[0:1], s[0:1], 0x28
	s_lshl_b64 s[6:7], s[6:7], 3
	v_and_b32_e32 v3, 1, v0
	s_add_u32 s2, s18, s6
	s_addc_u32 s3, s19, s7
                                        ; implicit-def: $sgpr12_sgpr13
                                        ; implicit-def: $vgpr9
                                        ; implicit-def: $vgpr11
                                        ; implicit-def: $vgpr13
                                        ; implicit-def: $vgpr7
	s_waitcnt lgkmcnt(0)
	v_cmp_gt_u64_e32 vcc_lo, s[0:1], v[5:6]
	v_cmp_le_u64_e64 s0, s[0:1], v[5:6]
	s_delay_alu instid0(VALU_DEP_1) | instskip(NEXT) | instid1(SALU_CYCLE_1)
	s_and_saveexec_b32 s1, s0
	s_xor_b32 s0, exec_lo, s1
; %bb.10:
	v_and_b32_e32 v3, 1, v0
	s_mov_b64 s[12:13], 0
                                        ; implicit-def: $vgpr14_vgpr15
	s_delay_alu instid0(VALU_DEP_1)
	v_or_b32_e32 v9, 2, v3
	v_or_b32_e32 v11, 4, v3
	;; [unrolled: 1-line block ×4, first 2 shown]
; %bb.11:
	s_or_saveexec_b32 s1, s0
	v_dual_mov_b32 v30, s13 :: v_dual_mov_b32 v29, s12
                                        ; implicit-def: $vgpr42
                                        ; implicit-def: $vgpr40
                                        ; implicit-def: $vgpr32
                                        ; implicit-def: $vgpr26
                                        ; implicit-def: $vgpr22
                                        ; implicit-def: $vgpr24
                                        ; implicit-def: $vgpr34
                                        ; implicit-def: $vgpr36
                                        ; implicit-def: $vgpr38
                                        ; implicit-def: $vgpr28
	s_xor_b32 exec_lo, exec_lo, s1
	s_cbranch_execz .LBB0_13
; %bb.12:
	s_add_u32 s6, s16, s6
	s_addc_u32 s7, s17, s7
	v_lshlrev_b64 v[11:12], 3, v[14:15]
	s_load_b64 s[6:7], s[6:7], 0x0
	v_or_b32_e32 v9, 2, v3
	v_or_b32_e32 v13, 6, v3
	s_waitcnt lgkmcnt(0)
	v_mul_lo_u32 v0, s7, v5
	v_mul_lo_u32 v4, s6, v6
	v_mad_u64_u32 v[7:8], null, s6, v5, 0
	s_delay_alu instid0(VALU_DEP_1) | instskip(NEXT) | instid1(VALU_DEP_1)
	v_add3_u32 v8, v8, v4, v0
	v_lshlrev_b64 v[7:8], 3, v[7:8]
	s_delay_alu instid0(VALU_DEP_1) | instskip(NEXT) | instid1(VALU_DEP_1)
	v_add_co_u32 v0, s0, s8, v7
	v_add_co_ci_u32_e64 v4, s0, s9, v8, s0
	v_lshlrev_b32_e32 v7, 3, v3
	s_delay_alu instid0(VALU_DEP_3) | instskip(NEXT) | instid1(VALU_DEP_1)
	v_add_co_u32 v0, s0, v0, v11
	v_add_co_ci_u32_e64 v4, s0, v4, v12, s0
	v_or_b32_e32 v11, 4, v3
	s_delay_alu instid0(VALU_DEP_3) | instskip(NEXT) | instid1(VALU_DEP_1)
	v_add_co_u32 v7, s0, v0, v7
	v_add_co_ci_u32_e64 v8, s0, 0, v4, s0
	s_clause 0xa
	global_load_b64 v[29:30], v[7:8], off
	global_load_b64 v[41:42], v[7:8], off offset:16
	global_load_b64 v[39:40], v[7:8], off offset:32
	global_load_b64 v[31:32], v[7:8], off offset:48
	global_load_b64 v[25:26], v[7:8], off offset:64
	global_load_b64 v[21:22], v[7:8], off offset:80
	global_load_b64 v[23:24], v[7:8], off offset:96
	global_load_b64 v[27:28], v[7:8], off offset:112
	global_load_b64 v[33:34], v[7:8], off offset:128
	global_load_b64 v[37:38], v[7:8], off offset:144
	global_load_b64 v[35:36], v[7:8], off offset:160
	v_or_b32_e32 v7, 8, v3
.LBB0_13:
	s_or_b32 exec_lo, exec_lo, s1
	s_waitcnt vmcnt(1)
	v_sub_f32_e32 v14, v40, v38
	s_waitcnt vmcnt(0)
	v_sub_f32_e32 v8, v42, v36
	v_mul_u32_u24_e32 v4, 22, v10
	s_load_b64 s[2:3], s[2:3], 0x0
	v_cmp_eq_u32_e64 s0, 0, v3
	v_dual_mul_f32 v19, 0xbf68dda4, v14 :: v_dual_add_f32 v0, v41, v29
	v_dual_mul_f32 v15, 0xbf0a6770, v8 :: v_dual_add_f32 v10, v41, v35
	v_mul_f32_e32 v17, 0xbf7d64f0, v8
	v_lshl_add_u32 v4, v4, 2, 0
	s_delay_alu instid0(VALU_DEP_3) | instskip(SKIP_1) | instid1(VALU_DEP_4)
	v_fmamk_f32 v44, v10, 0x3f575c64, v15
	v_fma_f32 v15, 0x3f575c64, v10, -v15
	v_fmamk_f32 v46, v10, 0xbe11bafb, v17
	v_fma_f32 v17, 0xbe11bafb, v10, -v17
	v_mul_f32_e32 v18, 0xbf4178ce, v8
	s_delay_alu instid0(VALU_DEP_4) | instskip(SKIP_1) | instid1(VALU_DEP_4)
	v_dual_mul_f32 v16, 0xbf68dda4, v8 :: v_dual_add_f32 v15, v15, v29
	v_add_f32_e32 v12, v39, v37
	v_add_f32_e32 v17, v17, v29
	s_delay_alu instid0(VALU_DEP_4) | instskip(NEXT) | instid1(VALU_DEP_4)
	v_fmamk_f32 v47, v10, 0xbf27a4f4, v18
	v_dual_fmamk_f32 v45, v10, 0x3ed4b147, v16 :: v_dual_add_f32 v0, v39, v0
	v_mul_f32_e32 v43, 0x3e903f40, v14
	s_delay_alu instid0(VALU_DEP_3) | instskip(SKIP_1) | instid1(VALU_DEP_4)
	v_dual_mul_f32 v8, 0xbe903f40, v8 :: v_dual_add_f32 v47, v47, v29
	v_fma_f32 v16, 0x3ed4b147, v10, -v16
	v_dual_add_f32 v0, v31, v0 :: v_dual_add_f32 v45, v45, v29
	v_fma_f32 v18, 0xbf27a4f4, v10, -v18
	v_add_f32_e32 v46, v46, v29
	v_fmamk_f32 v48, v10, 0xbf75a155, v8
	v_fma_f32 v8, 0xbf75a155, v10, -v8
	v_fmamk_f32 v10, v12, 0x3ed4b147, v19
	v_fma_f32 v19, 0x3ed4b147, v12, -v19
	v_mul_f32_e32 v20, 0xbf4178ce, v14
	v_add_f32_e32 v44, v44, v29
	v_add_f32_e32 v16, v16, v29
	s_delay_alu instid0(VALU_DEP_4)
	v_dual_add_f32 v18, v18, v29 :: v_dual_add_f32 v15, v19, v15
	v_add_f32_e32 v0, v25, v0
	v_add_f32_e32 v48, v48, v29
	;; [unrolled: 1-line block ×3, first 2 shown]
	v_fmamk_f32 v29, v12, 0xbf27a4f4, v20
	v_fma_f32 v20, 0xbf27a4f4, v12, -v20
	v_dual_add_f32 v0, v21, v0 :: v_dual_fmamk_f32 v19, v12, 0xbf75a155, v43
	v_fma_f32 v43, 0xbf75a155, v12, -v43
	s_delay_alu instid0(VALU_DEP_2) | instskip(NEXT) | instid1(VALU_DEP_3)
	v_dual_add_f32 v29, v29, v45 :: v_dual_add_f32 v0, v23, v0
	v_add_f32_e32 v19, v19, v46
	s_delay_alu instid0(VALU_DEP_3) | instskip(SKIP_4) | instid1(VALU_DEP_4)
	v_add_f32_e32 v17, v43, v17
	v_dual_sub_f32 v43, v32, v34 :: v_dual_add_f32 v46, v31, v33
	v_add_f32_e32 v16, v20, v16
	v_mul_f32_e32 v20, 0x3f7d64f0, v14
	v_mul_f32_e32 v14, 0x3f0a6770, v14
	v_dual_add_f32 v0, v27, v0 :: v_dual_mul_f32 v49, 0xbf7d64f0, v43
	v_add_f32_e32 v10, v10, v44
	s_delay_alu instid0(VALU_DEP_4) | instskip(SKIP_1) | instid1(VALU_DEP_4)
	v_fmamk_f32 v44, v12, 0xbe11bafb, v20
	v_fma_f32 v20, 0xbe11bafb, v12, -v20
	v_dual_fmamk_f32 v45, v12, 0x3f575c64, v14 :: v_dual_add_f32 v0, v33, v0
	v_fma_f32 v12, 0x3f575c64, v12, -v14
	s_delay_alu instid0(VALU_DEP_4) | instskip(NEXT) | instid1(VALU_DEP_4)
	v_add_f32_e32 v44, v44, v47
	v_add_f32_e32 v14, v20, v18
	s_delay_alu instid0(VALU_DEP_4) | instskip(SKIP_3) | instid1(VALU_DEP_3)
	v_add_f32_e32 v18, v45, v48
	v_fmamk_f32 v20, v46, 0xbe11bafb, v49
	v_mul_f32_e32 v45, 0x3e903f40, v43
	v_dual_mul_f32 v47, 0x3f68dda4, v43 :: v_dual_add_f32 v0, v37, v0
	v_add_f32_e32 v10, v20, v10
	s_delay_alu instid0(VALU_DEP_3) | instskip(SKIP_1) | instid1(VALU_DEP_2)
	v_fmamk_f32 v20, v46, 0xbf75a155, v45
	v_fma_f32 v45, 0xbf75a155, v46, -v45
	v_dual_add_f32 v20, v20, v29 :: v_dual_mul_f32 v29, 0xbf0a6770, v43
	s_delay_alu instid0(VALU_DEP_2) | instskip(NEXT) | instid1(VALU_DEP_2)
	v_dual_add_f32 v16, v45, v16 :: v_dual_mul_f32 v43, 0xbf4178ce, v43
	v_fmamk_f32 v45, v46, 0x3f575c64, v29
	v_fma_f32 v29, 0x3f575c64, v46, -v29
	v_add_f32_e32 v8, v12, v8
	v_fma_f32 v12, 0xbe11bafb, v46, -v49
	s_delay_alu instid0(VALU_DEP_3) | instskip(SKIP_1) | instid1(VALU_DEP_1)
	v_add_f32_e32 v14, v29, v14
	v_fma_f32 v29, 0xbf27a4f4, v46, -v43
	v_add_f32_e32 v8, v29, v8
	s_delay_alu instid0(VALU_DEP_4) | instskip(SKIP_1) | instid1(VALU_DEP_2)
	v_dual_add_f32 v12, v12, v15 :: v_dual_fmamk_f32 v15, v46, 0x3ed4b147, v47
	v_add_f32_e32 v0, v35, v0
	v_add_f32_e32 v15, v15, v19
	v_sub_f32_e32 v19, v26, v28
	s_delay_alu instid0(VALU_DEP_1) | instskip(SKIP_3) | instid1(VALU_DEP_3)
	v_mul_f32_e32 v29, 0xbf0a6770, v19
	v_fma_f32 v47, 0x3ed4b147, v46, -v47
	v_mul_f32_e32 v48, 0xbf4178ce, v19
	v_fmamk_f32 v49, v46, 0xbf27a4f4, v43
	v_add_f32_e32 v17, v47, v17
	v_add_f32_e32 v47, v25, v27
	s_delay_alu instid0(VALU_DEP_1) | instskip(SKIP_3) | instid1(VALU_DEP_4)
	v_dual_fmamk_f32 v43, v47, 0xbf27a4f4, v48 :: v_dual_add_f32 v44, v45, v44
	v_mul_f32_e32 v45, 0x3f7d64f0, v19
	v_fma_f32 v46, 0xbf27a4f4, v47, -v48
	v_fmamk_f32 v48, v47, 0x3f575c64, v29
	v_add_f32_e32 v10, v43, v10
	v_fma_f32 v29, 0x3f575c64, v47, -v29
	s_delay_alu instid0(VALU_DEP_4) | instskip(SKIP_1) | instid1(VALU_DEP_3)
	v_dual_fmamk_f32 v43, v47, 0xbe11bafb, v45 :: v_dual_add_f32 v12, v46, v12
	v_fma_f32 v45, 0xbe11bafb, v47, -v45
	v_dual_mul_f32 v46, 0xbe903f40, v19 :: v_dual_add_f32 v17, v29, v17
	s_delay_alu instid0(VALU_DEP_3) | instskip(NEXT) | instid1(VALU_DEP_2)
	v_add_f32_e32 v20, v43, v20
	v_dual_add_f32 v16, v45, v16 :: v_dual_fmamk_f32 v43, v47, 0xbf75a155, v46
	v_add_f32_e32 v45, v48, v15
	v_mul_f32_e32 v15, 0x3f68dda4, v19
	v_sub_f32_e32 v19, v22, v24
	s_delay_alu instid0(VALU_DEP_4) | instskip(SKIP_1) | instid1(VALU_DEP_4)
	v_add_f32_e32 v29, v43, v44
	v_fma_f32 v43, 0xbf75a155, v47, -v46
	v_fmamk_f32 v44, v47, 0x3ed4b147, v15
	v_fma_f32 v15, 0x3ed4b147, v47, -v15
	v_add_f32_e32 v46, v21, v23
	v_mul_f32_e32 v48, 0xbe903f40, v19
	v_dual_add_f32 v14, v43, v14 :: v_dual_mul_f32 v43, 0x3f0a6770, v19
	s_delay_alu instid0(VALU_DEP_4) | instskip(SKIP_1) | instid1(VALU_DEP_4)
	v_dual_add_f32 v47, v15, v8 :: v_dual_add_f32 v18, v49, v18
	v_mul_f32_e32 v8, 0xbf4178ce, v19
	v_fma_f32 v15, 0xbf75a155, v46, -v48
	v_lshl_add_u32 v49, v7, 2, v4
	s_delay_alu instid0(VALU_DEP_4) | instskip(SKIP_3) | instid1(VALU_DEP_3)
	v_add_f32_e32 v18, v44, v18
	v_fmamk_f32 v44, v46, 0xbf75a155, v48
	v_fmamk_f32 v48, v46, 0x3f575c64, v43
	v_fma_f32 v43, 0x3f575c64, v46, -v43
	v_dual_add_f32 v15, v15, v12 :: v_dual_add_f32 v10, v44, v10
	v_fmamk_f32 v44, v46, 0xbf27a4f4, v8
	s_delay_alu instid0(VALU_DEP_4) | instskip(SKIP_2) | instid1(VALU_DEP_4)
	v_add_f32_e32 v12, v48, v20
	v_mul_f32_e32 v20, 0x3f68dda4, v19
	v_dual_mul_f32 v19, 0xbf7d64f0, v19 :: v_dual_add_f32 v16, v43, v16
	v_add_f32_e32 v43, v44, v45
	v_fma_f32 v44, 0xbf27a4f4, v46, -v8
	s_delay_alu instid0(VALU_DEP_4) | instskip(NEXT) | instid1(VALU_DEP_4)
	v_fmamk_f32 v8, v46, 0x3ed4b147, v20
	v_fmamk_f32 v45, v46, 0xbe11bafb, v19
	v_fma_f32 v20, 0x3ed4b147, v46, -v20
	v_fma_f32 v19, 0xbe11bafb, v46, -v19
	v_add_f32_e32 v17, v44, v17
	v_add_f32_e32 v29, v8, v29
	v_mad_u32_u24 v8, v3, 44, v4
	s_delay_alu instid0(VALU_DEP_4)
	v_dual_add_f32 v18, v45, v18 :: v_dual_add_f32 v19, v19, v47
	v_add_f32_e32 v14, v20, v14
	ds_store_2addr_b32 v8, v0, v10 offset1:1
	ds_store_2addr_b32 v8, v12, v43 offset0:2 offset1:3
	ds_store_2addr_b32 v8, v29, v18 offset0:4 offset1:5
	;; [unrolled: 1-line block ×4, first 2 shown]
	ds_store_b32 v8, v15 offset:40
	v_mad_i32_i24 v10, 0xffffffd8, v3, v8
	v_lshl_add_u32 v12, v3, 2, v4
	v_lshl_add_u32 v14, v9, 2, v4
	;; [unrolled: 1-line block ×4, first 2 shown]
	s_waitcnt lgkmcnt(0)
	s_barrier
	buffer_gl0_inv
	ds_load_2addr_b32 v[17:18], v10 offset0:11 offset1:13
	ds_load_2addr_b32 v[19:20], v10 offset0:15 offset1:17
	ds_load_b32 v29, v12
	ds_load_b32 v46, v10 offset:76
	ds_load_b32 v43, v14
	ds_load_b32 v0, v47
	;; [unrolled: 1-line block ×4, first 2 shown]
	s_and_saveexec_b32 s1, s0
	s_cbranch_execz .LBB0_15
; %bb.14:
	ds_load_2addr_b32 v[15:16], v4 offset0:10 offset1:21
.LBB0_15:
	s_or_b32 exec_lo, exec_lo, s1
	v_dual_add_f32 v50, v42, v30 :: v_dual_sub_f32 v35, v41, v35
	v_sub_f32_e32 v37, v39, v37
	v_dual_add_f32 v41, v42, v36 :: v_dual_add_f32 v42, v40, v38
	s_delay_alu instid0(VALU_DEP_3) | instskip(SKIP_2) | instid1(VALU_DEP_2)
	v_dual_add_f32 v39, v40, v50 :: v_dual_mul_f32 v50, 0xbf68dda4, v35
	v_dual_mul_f32 v40, 0xbf0a6770, v35 :: v_dual_sub_f32 v31, v31, v33
	s_waitcnt lgkmcnt(0)
	v_dual_add_f32 v39, v32, v39 :: v_dual_mul_f32 v54, 0xbf4178ce, v37
	s_delay_alu instid0(VALU_DEP_2) | instskip(SKIP_2) | instid1(VALU_DEP_4)
	v_fma_f32 v56, 0x3f575c64, v41, -v40
	v_fma_f32 v57, 0x3ed4b147, v41, -v50
	v_mul_f32_e32 v52, 0xbf4178ce, v35
	v_dual_add_f32 v39, v26, v39 :: v_dual_fmac_f32 v40, 0x3f575c64, v41
	v_fmac_f32_e32 v50, 0x3ed4b147, v41
	v_dual_mul_f32 v51, 0xbf7d64f0, v35 :: v_dual_add_f32 v56, v56, v30
	s_delay_alu instid0(VALU_DEP_3) | instskip(NEXT) | instid1(VALU_DEP_4)
	v_add_f32_e32 v39, v22, v39
	v_dual_mul_f32 v35, 0xbe903f40, v35 :: v_dual_add_f32 v40, v40, v30
	v_add_f32_e32 v57, v57, v30
	v_fma_f32 v59, 0xbf27a4f4, v41, -v52
	s_delay_alu instid0(VALU_DEP_4) | instskip(NEXT) | instid1(VALU_DEP_4)
	v_dual_fmac_f32 v52, 0xbf27a4f4, v41 :: v_dual_add_f32 v39, v24, v39
	v_fma_f32 v60, 0xbf75a155, v41, -v35
	v_fmac_f32_e32 v35, 0xbf75a155, v41
	v_dual_mul_f32 v53, 0xbf68dda4, v37 :: v_dual_add_f32 v50, v50, v30
	s_delay_alu instid0(VALU_DEP_4) | instskip(SKIP_3) | instid1(VALU_DEP_4)
	v_add_f32_e32 v39, v28, v39
	v_fma_f32 v58, 0xbe11bafb, v41, -v51
	v_dual_mul_f32 v55, 0x3e903f40, v37 :: v_dual_add_f32 v32, v32, v34
	v_add_f32_e32 v59, v59, v30
	v_add_f32_e32 v39, v34, v39
	v_fmac_f32_e32 v51, 0xbe11bafb, v41
	v_fma_f32 v41, 0x3ed4b147, v42, -v53
	v_mul_f32_e32 v34, 0xbf7d64f0, v31
	v_fma_f32 v61, 0xbf27a4f4, v42, -v54
	v_dual_add_f32 v38, v38, v39 :: v_dual_add_f32 v39, v52, v30
	v_add_f32_e32 v52, v60, v30
	v_fmac_f32_e32 v53, 0x3ed4b147, v42
	v_add_f32_e32 v58, v58, v30
	v_add_f32_e32 v51, v51, v30
	v_dual_add_f32 v30, v35, v30 :: v_dual_add_f32 v35, v41, v56
	v_fmac_f32_e32 v54, 0xbf27a4f4, v42
	v_add_f32_e32 v36, v36, v38
	v_add_f32_e32 v38, v53, v40
	v_fma_f32 v40, 0xbf75a155, v42, -v55
	v_mul_f32_e32 v53, 0x3f7d64f0, v37
	v_mul_f32_e32 v37, 0x3f0a6770, v37
	v_dual_add_f32 v41, v61, v57 :: v_dual_add_f32 v50, v54, v50
	s_delay_alu instid0(VALU_DEP_4) | instskip(NEXT) | instid1(VALU_DEP_4)
	v_add_f32_e32 v40, v40, v58
	v_fma_f32 v33, 0xbe11bafb, v42, -v53
	v_dual_fmac_f32 v53, 0xbe11bafb, v42 :: v_dual_add_f32 v26, v26, v28
	v_fma_f32 v54, 0x3f575c64, v42, -v37
	v_fmac_f32_e32 v55, 0xbf75a155, v42
	v_fmac_f32_e32 v37, 0x3f575c64, v42
	v_sub_f32_e32 v25, v25, v27
	s_delay_alu instid0(VALU_DEP_4) | instskip(SKIP_2) | instid1(VALU_DEP_4)
	v_dual_mul_f32 v27, 0xbf4178ce, v31 :: v_dual_add_f32 v42, v54, v52
	v_fma_f32 v52, 0xbe11bafb, v32, -v34
	v_dual_fmac_f32 v34, 0xbe11bafb, v32 :: v_dual_add_f32 v39, v53, v39
	v_mul_f32_e32 v28, 0xbf4178ce, v25
	v_dual_mul_f32 v53, 0x3e903f40, v31 :: v_dual_add_f32 v30, v37, v30
	s_delay_alu instid0(VALU_DEP_3) | instskip(SKIP_1) | instid1(VALU_DEP_3)
	v_dual_add_f32 v35, v52, v35 :: v_dual_add_f32 v34, v34, v38
	v_mul_f32_e32 v37, 0x3f68dda4, v31
	v_fma_f32 v52, 0xbf75a155, v32, -v53
	v_fmac_f32_e32 v53, 0xbf75a155, v32
	s_barrier
	buffer_gl0_inv
	v_fma_f32 v38, 0x3ed4b147, v32, -v37
	v_dual_add_f32 v41, v52, v41 :: v_dual_mul_f32 v52, 0xbf0a6770, v31
	v_add_f32_e32 v33, v33, v59
	v_add_f32_e32 v50, v53, v50
	s_delay_alu instid0(VALU_DEP_4)
	v_add_f32_e32 v38, v38, v40
	v_fma_f32 v40, 0xbf27a4f4, v32, -v27
	v_fma_f32 v31, 0x3f575c64, v32, -v52
	v_fmac_f32_e32 v52, 0x3f575c64, v32
	v_fmac_f32_e32 v37, 0x3ed4b147, v32
	v_dual_add_f32 v51, v55, v51 :: v_dual_add_f32 v22, v22, v24
	s_delay_alu instid0(VALU_DEP_4) | instskip(NEXT) | instid1(VALU_DEP_4)
	v_add_f32_e32 v31, v31, v33
	v_add_f32_e32 v33, v52, v39
	v_fmac_f32_e32 v27, 0xbf27a4f4, v32
	v_fma_f32 v32, 0xbf27a4f4, v26, -v28
	v_dual_add_f32 v39, v40, v42 :: v_dual_mul_f32 v40, 0x3f7d64f0, v25
	v_fmac_f32_e32 v28, 0xbf27a4f4, v26
	s_delay_alu instid0(VALU_DEP_3) | instskip(SKIP_1) | instid1(VALU_DEP_4)
	v_dual_add_f32 v27, v27, v30 :: v_dual_add_f32 v30, v32, v35
	v_sub_f32_e32 v23, v21, v23
	v_fma_f32 v35, 0xbe11bafb, v26, -v40
	v_fmac_f32_e32 v40, 0xbe11bafb, v26
	v_mul_f32_e32 v32, 0xbf0a6770, v25
	v_add_f32_e32 v28, v28, v34
	v_mul_f32_e32 v34, 0xbe903f40, v25
	v_mul_f32_e32 v25, 0x3f68dda4, v25
	v_add_f32_e32 v35, v35, v41
	v_fma_f32 v42, 0x3f575c64, v26, -v32
	v_fmac_f32_e32 v32, 0x3f575c64, v26
	v_fma_f32 v41, 0xbf75a155, v26, -v34
	v_fmac_f32_e32 v34, 0xbf75a155, v26
	v_fma_f32 v21, 0x3ed4b147, v26, -v25
	v_dual_add_f32 v38, v42, v38 :: v_dual_add_f32 v37, v37, v51
	v_add_f32_e32 v40, v40, v50
	s_delay_alu instid0(VALU_DEP_4) | instskip(NEXT) | instid1(VALU_DEP_4)
	v_dual_fmac_f32 v25, 0x3ed4b147, v26 :: v_dual_add_f32 v26, v34, v33
	v_add_f32_e32 v33, v21, v39
	v_mul_f32_e32 v24, 0xbe903f40, v23
	v_add_f32_e32 v32, v32, v37
	s_delay_alu instid0(VALU_DEP_2) | instskip(SKIP_2) | instid1(VALU_DEP_2)
	v_fma_f32 v21, 0xbf75a155, v22, -v24
	v_fmac_f32_e32 v24, 0xbf75a155, v22
	v_mul_f32_e32 v34, 0x3f0a6770, v23
	v_dual_add_f32 v30, v21, v30 :: v_dual_add_f32 v21, v24, v28
	s_delay_alu instid0(VALU_DEP_2) | instskip(SKIP_1) | instid1(VALU_DEP_2)
	v_fma_f32 v37, 0x3f575c64, v22, -v34
	v_dual_add_f32 v31, v41, v31 :: v_dual_fmac_f32 v34, 0x3f575c64, v22
	v_add_f32_e32 v28, v37, v35
	v_mul_f32_e32 v35, 0x3f68dda4, v23
	s_delay_alu instid0(VALU_DEP_3) | instskip(NEXT) | instid1(VALU_DEP_2)
	v_dual_add_f32 v25, v25, v27 :: v_dual_add_f32 v34, v34, v40
	v_fma_f32 v37, 0x3ed4b147, v22, -v35
	v_fmac_f32_e32 v35, 0x3ed4b147, v22
	v_mul_f32_e32 v27, 0xbf4178ce, v23
	s_delay_alu instid0(VALU_DEP_2) | instskip(NEXT) | instid1(VALU_DEP_2)
	v_dual_mul_f32 v23, 0xbf7d64f0, v23 :: v_dual_add_f32 v26, v35, v26
	v_fma_f32 v24, 0xbf27a4f4, v22, -v27
	v_fmac_f32_e32 v27, 0xbf27a4f4, v22
	s_delay_alu instid0(VALU_DEP_2) | instskip(NEXT) | instid1(VALU_DEP_4)
	v_add_f32_e32 v24, v24, v38
	v_fma_f32 v38, 0xbe11bafb, v22, -v23
	s_delay_alu instid0(VALU_DEP_3) | instskip(SKIP_1) | instid1(VALU_DEP_3)
	v_dual_fmac_f32 v23, 0xbe11bafb, v22 :: v_dual_add_f32 v22, v27, v32
	v_add_f32_e32 v27, v37, v31
	v_add_f32_e32 v31, v38, v33
	s_delay_alu instid0(VALU_DEP_3)
	v_add_f32_e32 v23, v23, v25
	ds_store_2addr_b32 v8, v36, v30 offset1:1
	ds_store_2addr_b32 v8, v28, v24 offset0:2 offset1:3
	ds_store_2addr_b32 v8, v27, v31 offset0:4 offset1:5
	ds_store_2addr_b32 v8, v23, v26 offset0:6 offset1:7
	ds_store_2addr_b32 v8, v22, v34 offset0:8 offset1:9
	ds_store_b32 v8, v21 offset:40
	s_waitcnt lgkmcnt(0)
	s_barrier
	buffer_gl0_inv
	ds_load_2addr_b32 v[25:26], v10 offset0:11 offset1:13
	ds_load_2addr_b32 v[27:28], v10 offset0:15 offset1:17
	ds_load_b32 v31, v12
	ds_load_b32 v35, v10 offset:76
	ds_load_b32 v32, v14
	ds_load_b32 v30, v47
	;; [unrolled: 1-line block ×4, first 2 shown]
	v_mov_b32_e32 v23, 0
	v_mov_b32_e32 v24, 0
	s_and_saveexec_b32 s1, s0
	s_cbranch_execz .LBB0_17
; %bb.16:
	ds_load_2addr_b32 v[21:22], v4 offset0:10 offset1:21
	v_mov_b32_e32 v23, 10
	v_mov_b32_e32 v24, 0
.LBB0_17:
	s_or_b32 exec_lo, exec_lo, s1
	s_and_saveexec_b32 s0, vcc_lo
	s_cbranch_execz .LBB0_20
; %bb.18:
	v_dual_mov_b32 v8, 0 :: v_dual_add_nc_u32 v41, 2, v3
	v_mul_lo_u32 v24, s2, v6
	v_add_nc_u32_e32 v42, 4, v3
	v_mul_hi_u32 v40, 0xba2e8ba3, v3
	s_delay_alu instid0(VALU_DEP_4) | instskip(SKIP_3) | instid1(VALU_DEP_4)
	v_dual_mov_b32 v14, v8 :: v_dual_add_nc_u32 v47, 6, v3
	v_lshlrev_b64 v[36:37], 3, v[7:8]
	v_mov_b32_e32 v12, v8
	v_mov_b32_e32 v10, v8
	v_lshlrev_b64 v[13:14], 3, v[13:14]
	v_mov_b32_e32 v4, v8
	v_mad_u64_u32 v[6:7], null, s2, v5, 0
	v_add_co_u32 v36, vcc_lo, s4, v36
	v_lshlrev_b64 v[11:12], 3, v[11:12]
	v_add_co_ci_u32_e32 v37, vcc_lo, s5, v37, vcc_lo
	v_add_co_u32 v13, vcc_lo, s4, v13
	v_lshlrev_b64 v[9:10], 3, v[9:10]
	v_add_co_ci_u32_e32 v14, vcc_lo, s5, v14, vcc_lo
	;; [unrolled: 3-line block ×3, first 2 shown]
	v_add_co_u32 v9, vcc_lo, s4, v9
	v_add_co_ci_u32_e32 v10, vcc_lo, s5, v10, vcc_lo
	s_clause 0x1
	global_load_b64 v[36:37], v[36:37], off
	global_load_b64 v[13:14], v[13:14], off
	v_add_co_u32 v38, vcc_lo, s4, v38
	v_add_co_ci_u32_e32 v39, vcc_lo, s5, v39, vcc_lo
	s_clause 0x2
	global_load_b64 v[11:12], v[11:12], off
	global_load_b64 v[9:10], v[9:10], off
	;; [unrolled: 1-line block ×3, first 2 shown]
	v_mul_lo_u32 v4, s3, v5
	v_add_nc_u32_e32 v48, 8, v3
	v_mul_hi_u32 v5, 0xba2e8ba3, v41
	v_mul_hi_u32 v49, 0xba2e8ba3, v42
	;; [unrolled: 1-line block ×3, first 2 shown]
	v_lshrrev_b32_e32 v40, 3, v40
	v_mul_hi_u32 v51, 0xba2e8ba3, v48
	v_lshlrev_b64 v[1:2], 3, v[1:2]
	v_add3_u32 v7, v7, v24, v4
	v_lshrrev_b32_e32 v52, 3, v5
	v_lshrrev_b32_e32 v53, 3, v49
	;; [unrolled: 1-line block ×3, first 2 shown]
	s_delay_alu instid0(VALU_DEP_4)
	v_lshlrev_b64 v[4:5], 3, v[6:7]
	v_lshrrev_b32_e32 v55, 3, v51
	v_mul_lo_u32 v6, v52, 11
	v_mul_lo_u32 v7, v53, 11
	;; [unrolled: 1-line block ×4, first 2 shown]
	v_add_co_u32 v4, vcc_lo, s10, v4
	v_mul_lo_u32 v49, v55, 11
	v_add_co_ci_u32_e32 v5, vcc_lo, s11, v5, vcc_lo
	s_delay_alu instid0(VALU_DEP_3) | instskip(SKIP_1) | instid1(VALU_DEP_3)
	v_add_co_u32 v1, vcc_lo, v4, v1
	v_sub_nc_u32_e32 v4, v41, v6
	v_add_co_ci_u32_e32 v2, vcc_lo, v5, v2, vcc_lo
	v_sub_nc_u32_e32 v5, v42, v7
	v_sub_nc_u32_e32 v6, v47, v40
	;; [unrolled: 1-line block ×4, first 2 shown]
	s_delay_alu instid0(VALU_DEP_4) | instskip(NEXT) | instid1(VALU_DEP_4)
	v_mad_u64_u32 v[47:48], null, v52, 22, v[4:5]
	v_mad_u64_u32 v[49:50], null, v53, 22, v[5:6]
	s_delay_alu instid0(VALU_DEP_4)
	v_mad_u64_u32 v[4:5], null, v54, 22, v[6:7]
	v_mov_b32_e32 v48, v8
	v_lshlrev_b32_e32 v24, 3, v24
	v_mov_b32_e32 v50, v8
	v_mad_u64_u32 v[51:52], null, v55, 22, v[7:8]
	v_add_nc_u32_e32 v7, 11, v47
	v_lshlrev_b64 v[47:48], 3, v[47:48]
	v_mov_b32_e32 v5, v8
	v_add_co_u32 v40, vcc_lo, v1, v24
	v_lshlrev_b64 v[53:54], 3, v[49:50]
	v_mov_b32_e32 v52, v8
	v_add_co_ci_u32_e32 v41, vcc_lo, 0, v2, vcc_lo
	v_lshlrev_b64 v[5:6], 3, v[4:5]
	v_add_co_u32 v47, vcc_lo, v1, v47
	v_add_co_ci_u32_e32 v48, vcc_lo, v2, v48, vcc_lo
	v_lshlrev_b64 v[55:56], 3, v[51:52]
	v_lshlrev_b64 v[57:58], 3, v[7:8]
	v_add_nc_u32_e32 v7, 11, v49
	v_add_co_u32 v49, vcc_lo, v1, v53
	v_add_co_ci_u32_e32 v50, vcc_lo, v2, v54, vcc_lo
	v_add_co_u32 v5, vcc_lo, v1, v5
	v_add_co_ci_u32_e32 v6, vcc_lo, v2, v6, vcc_lo
	v_add_co_u32 v52, vcc_lo, v1, v55
	v_lshlrev_b64 v[54:55], 3, v[7:8]
	v_add_nc_u32_e32 v7, 11, v4
	v_add_co_ci_u32_e32 v53, vcc_lo, v2, v56, vcc_lo
	v_add_co_u32 v56, vcc_lo, v1, v57
	v_add_co_ci_u32_e32 v57, vcc_lo, v2, v58, vcc_lo
	s_delay_alu instid0(VALU_DEP_4) | instskip(SKIP_3) | instid1(VALU_DEP_3)
	v_lshlrev_b64 v[58:59], 3, v[7:8]
	v_add_nc_u32_e32 v7, 11, v51
	v_add_co_u32 v54, vcc_lo, v1, v54
	v_add_co_ci_u32_e32 v55, vcc_lo, v2, v55, vcc_lo
	v_lshlrev_b64 v[60:61], 3, v[7:8]
	v_add_nc_u32_e32 v7, 10, v3
	v_add_co_u32 v58, vcc_lo, v1, v58
	v_add_co_ci_u32_e32 v59, vcc_lo, v2, v59, vcc_lo
	s_delay_alu instid0(VALU_DEP_3) | instskip(SKIP_1) | instid1(VALU_DEP_1)
	v_cmp_gt_u32_e32 vcc_lo, 11, v7
	v_add_co_u32 v60, s0, v1, v60
	v_add_co_ci_u32_e64 v61, s0, v2, v61, s0
	s_waitcnt vmcnt(4) lgkmcnt(4)
	v_mul_f32_e32 v24, v35, v37
	s_delay_alu instid0(VALU_DEP_1)
	v_fmac_f32_e32 v24, v46, v36
	v_mul_f32_e32 v4, v46, v37
	s_waitcnt vmcnt(1)
	v_dual_mul_f32 v46, v27, v12 :: v_dual_mul_f32 v51, v26, v10
	v_mul_f32_e32 v37, v20, v14
	v_mul_f32_e32 v14, v28, v14
	v_fma_f32 v4, v35, v36, -v4
	s_delay_alu instid0(VALU_DEP_4)
	v_dual_fmac_f32 v46, v19, v11 :: v_dual_fmac_f32 v51, v18, v9
	v_mul_f32_e32 v42, v19, v12
	v_mul_f32_e32 v12, v18, v10
	s_waitcnt vmcnt(0)
	v_mul_f32_e32 v10, v17, v39
	v_dual_mul_f32 v39, v25, v39 :: v_dual_fmac_f32 v14, v20, v13
	s_waitcnt lgkmcnt(0)
	v_sub_f32_e32 v36, v34, v4
	v_fma_f32 v4, v28, v13, -v37
	v_fma_f32 v20, v25, v38, -v10
	v_fmac_f32_e32 v39, v17, v38
	v_sub_f32_e32 v17, v43, v51
	v_fma_f32 v19, v26, v9, -v12
	v_fma_f32 v13, v27, v11, -v42
	v_dual_sub_f32 v20, v31, v20 :: v_dual_sub_f32 v11, v44, v14
	s_delay_alu instid0(VALU_DEP_3) | instskip(NEXT) | instid1(VALU_DEP_3)
	v_dual_sub_f32 v35, v45, v24 :: v_dual_sub_f32 v18, v32, v19
	v_dual_sub_f32 v19, v29, v39 :: v_dual_sub_f32 v14, v30, v13
	;; [unrolled: 1-line block ×3, first 2 shown]
	s_delay_alu instid0(VALU_DEP_4) | instskip(NEXT) | instid1(VALU_DEP_3)
	v_fma_f32 v27, v31, 2.0, -v20
	v_fma_f32 v26, v29, 2.0, -v19
	v_fma_f32 v29, v32, 2.0, -v18
	v_fma_f32 v28, v43, 2.0, -v17
	v_fma_f32 v31, v30, 2.0, -v14
	v_fma_f32 v30, v0, 2.0, -v13
	v_fma_f32 v10, v34, 2.0, -v36
	v_fma_f32 v9, v45, 2.0, -v35
	v_fma_f32 v25, v33, 2.0, -v12
	v_fma_f32 v24, v44, 2.0, -v11
	s_clause 0x9
	global_store_b64 v[40:41], v[26:27], off
	global_store_b64 v[40:41], v[19:20], off offset:88
	global_store_b64 v[47:48], v[28:29], off
	global_store_b64 v[56:57], v[17:18], off
	;; [unrolled: 1-line block ×8, first 2 shown]
	s_and_b32 exec_lo, exec_lo, vcc_lo
	s_cbranch_execz .LBB0_20
; %bb.19:
	v_lshlrev_b32_e32 v0, 3, v23
	v_mov_b32_e32 v4, v8
	global_load_b64 v[5:6], v0, s[4:5]
	v_lshlrev_b64 v[3:4], 3, v[3:4]
	s_waitcnt vmcnt(0)
	v_mul_f32_e32 v0, v22, v6
	s_delay_alu instid0(VALU_DEP_1) | instskip(SKIP_1) | instid1(VALU_DEP_1)
	v_fmac_f32_e32 v0, v16, v5
	v_mul_f32_e32 v6, v16, v6
	v_fma_f32 v9, v22, v5, -v6
	v_lshlrev_b64 v[5:6], 3, v[7:8]
	s_delay_alu instid0(VALU_DEP_2) | instskip(NEXT) | instid1(VALU_DEP_2)
	v_dual_sub_f32 v7, v15, v0 :: v_dual_sub_f32 v8, v21, v9
	v_add_co_u32 v5, vcc_lo, v1, v5
	s_delay_alu instid0(VALU_DEP_3) | instskip(SKIP_1) | instid1(VALU_DEP_4)
	v_add_co_ci_u32_e32 v6, vcc_lo, v2, v6, vcc_lo
	v_add_co_u32 v0, vcc_lo, v1, v3
	v_fma_f32 v9, v15, 2.0, -v7
	v_fma_f32 v10, v21, 2.0, -v8
	v_add_co_ci_u32_e32 v1, vcc_lo, v2, v4, vcc_lo
	s_clause 0x1
	global_store_b64 v[5:6], v[9:10], off
	global_store_b64 v[0:1], v[7:8], off offset:168
.LBB0_20:
	s_nop 0
	s_sendmsg sendmsg(MSG_DEALLOC_VGPRS)
	s_endpgm
	.section	.rodata,"a",@progbits
	.p2align	6, 0x0
	.amdhsa_kernel fft_rtc_back_len22_factors_11_2_wgs_64_tpt_2_halfLds_sp_op_CI_CI_unitstride_sbrr_dirReg
		.amdhsa_group_segment_fixed_size 0
		.amdhsa_private_segment_fixed_size 0
		.amdhsa_kernarg_size 104
		.amdhsa_user_sgpr_count 15
		.amdhsa_user_sgpr_dispatch_ptr 0
		.amdhsa_user_sgpr_queue_ptr 0
		.amdhsa_user_sgpr_kernarg_segment_ptr 1
		.amdhsa_user_sgpr_dispatch_id 0
		.amdhsa_user_sgpr_private_segment_size 0
		.amdhsa_wavefront_size32 1
		.amdhsa_uses_dynamic_stack 0
		.amdhsa_enable_private_segment 0
		.amdhsa_system_sgpr_workgroup_id_x 1
		.amdhsa_system_sgpr_workgroup_id_y 0
		.amdhsa_system_sgpr_workgroup_id_z 0
		.amdhsa_system_sgpr_workgroup_info 0
		.amdhsa_system_vgpr_workitem_id 0
		.amdhsa_next_free_vgpr 62
		.amdhsa_next_free_sgpr 27
		.amdhsa_reserve_vcc 1
		.amdhsa_float_round_mode_32 0
		.amdhsa_float_round_mode_16_64 0
		.amdhsa_float_denorm_mode_32 3
		.amdhsa_float_denorm_mode_16_64 3
		.amdhsa_dx10_clamp 1
		.amdhsa_ieee_mode 1
		.amdhsa_fp16_overflow 0
		.amdhsa_workgroup_processor_mode 1
		.amdhsa_memory_ordered 1
		.amdhsa_forward_progress 0
		.amdhsa_shared_vgpr_count 0
		.amdhsa_exception_fp_ieee_invalid_op 0
		.amdhsa_exception_fp_denorm_src 0
		.amdhsa_exception_fp_ieee_div_zero 0
		.amdhsa_exception_fp_ieee_overflow 0
		.amdhsa_exception_fp_ieee_underflow 0
		.amdhsa_exception_fp_ieee_inexact 0
		.amdhsa_exception_int_div_zero 0
	.end_amdhsa_kernel
	.text
.Lfunc_end0:
	.size	fft_rtc_back_len22_factors_11_2_wgs_64_tpt_2_halfLds_sp_op_CI_CI_unitstride_sbrr_dirReg, .Lfunc_end0-fft_rtc_back_len22_factors_11_2_wgs_64_tpt_2_halfLds_sp_op_CI_CI_unitstride_sbrr_dirReg
                                        ; -- End function
	.section	.AMDGPU.csdata,"",@progbits
; Kernel info:
; codeLenInByte = 5372
; NumSgprs: 29
; NumVgprs: 62
; ScratchSize: 0
; MemoryBound: 0
; FloatMode: 240
; IeeeMode: 1
; LDSByteSize: 0 bytes/workgroup (compile time only)
; SGPRBlocks: 3
; VGPRBlocks: 7
; NumSGPRsForWavesPerEU: 29
; NumVGPRsForWavesPerEU: 62
; Occupancy: 16
; WaveLimiterHint : 1
; COMPUTE_PGM_RSRC2:SCRATCH_EN: 0
; COMPUTE_PGM_RSRC2:USER_SGPR: 15
; COMPUTE_PGM_RSRC2:TRAP_HANDLER: 0
; COMPUTE_PGM_RSRC2:TGID_X_EN: 1
; COMPUTE_PGM_RSRC2:TGID_Y_EN: 0
; COMPUTE_PGM_RSRC2:TGID_Z_EN: 0
; COMPUTE_PGM_RSRC2:TIDIG_COMP_CNT: 0
	.text
	.p2alignl 7, 3214868480
	.fill 96, 4, 3214868480
	.type	__hip_cuid_4e054584ad5086de,@object ; @__hip_cuid_4e054584ad5086de
	.section	.bss,"aw",@nobits
	.globl	__hip_cuid_4e054584ad5086de
__hip_cuid_4e054584ad5086de:
	.byte	0                               ; 0x0
	.size	__hip_cuid_4e054584ad5086de, 1

	.ident	"AMD clang version 19.0.0git (https://github.com/RadeonOpenCompute/llvm-project roc-6.4.0 25133 c7fe45cf4b819c5991fe208aaa96edf142730f1d)"
	.section	".note.GNU-stack","",@progbits
	.addrsig
	.addrsig_sym __hip_cuid_4e054584ad5086de
	.amdgpu_metadata
---
amdhsa.kernels:
  - .args:
      - .actual_access:  read_only
        .address_space:  global
        .offset:         0
        .size:           8
        .value_kind:     global_buffer
      - .offset:         8
        .size:           8
        .value_kind:     by_value
      - .actual_access:  read_only
        .address_space:  global
        .offset:         16
        .size:           8
        .value_kind:     global_buffer
      - .actual_access:  read_only
        .address_space:  global
        .offset:         24
        .size:           8
        .value_kind:     global_buffer
      - .actual_access:  read_only
        .address_space:  global
        .offset:         32
        .size:           8
        .value_kind:     global_buffer
      - .offset:         40
        .size:           8
        .value_kind:     by_value
      - .actual_access:  read_only
        .address_space:  global
        .offset:         48
        .size:           8
        .value_kind:     global_buffer
      - .actual_access:  read_only
        .address_space:  global
        .offset:         56
        .size:           8
        .value_kind:     global_buffer
      - .offset:         64
        .size:           4
        .value_kind:     by_value
      - .actual_access:  read_only
        .address_space:  global
        .offset:         72
        .size:           8
        .value_kind:     global_buffer
      - .actual_access:  read_only
        .address_space:  global
        .offset:         80
        .size:           8
        .value_kind:     global_buffer
      - .actual_access:  read_only
        .address_space:  global
        .offset:         88
        .size:           8
        .value_kind:     global_buffer
      - .actual_access:  write_only
        .address_space:  global
        .offset:         96
        .size:           8
        .value_kind:     global_buffer
    .group_segment_fixed_size: 0
    .kernarg_segment_align: 8
    .kernarg_segment_size: 104
    .language:       OpenCL C
    .language_version:
      - 2
      - 0
    .max_flat_workgroup_size: 64
    .name:           fft_rtc_back_len22_factors_11_2_wgs_64_tpt_2_halfLds_sp_op_CI_CI_unitstride_sbrr_dirReg
    .private_segment_fixed_size: 0
    .sgpr_count:     29
    .sgpr_spill_count: 0
    .symbol:         fft_rtc_back_len22_factors_11_2_wgs_64_tpt_2_halfLds_sp_op_CI_CI_unitstride_sbrr_dirReg.kd
    .uniform_work_group_size: 1
    .uses_dynamic_stack: false
    .vgpr_count:     62
    .vgpr_spill_count: 0
    .wavefront_size: 32
    .workgroup_processor_mode: 1
amdhsa.target:   amdgcn-amd-amdhsa--gfx1100
amdhsa.version:
  - 1
  - 2
...

	.end_amdgpu_metadata
